;; amdgpu-corpus repo=ROCm/rocFFT kind=compiled arch=gfx906 opt=O3
	.text
	.amdgcn_target "amdgcn-amd-amdhsa--gfx906"
	.amdhsa_code_object_version 6
	.protected	fft_rtc_back_len768_factors_16_3_16_wgs_48_tpt_48_halfLds_sp_ip_CI_sbrr_dirReg ; -- Begin function fft_rtc_back_len768_factors_16_3_16_wgs_48_tpt_48_halfLds_sp_ip_CI_sbrr_dirReg
	.globl	fft_rtc_back_len768_factors_16_3_16_wgs_48_tpt_48_halfLds_sp_ip_CI_sbrr_dirReg
	.p2align	8
	.type	fft_rtc_back_len768_factors_16_3_16_wgs_48_tpt_48_halfLds_sp_ip_CI_sbrr_dirReg,@function
fft_rtc_back_len768_factors_16_3_16_wgs_48_tpt_48_halfLds_sp_ip_CI_sbrr_dirReg: ; @fft_rtc_back_len768_factors_16_3_16_wgs_48_tpt_48_halfLds_sp_ip_CI_sbrr_dirReg
; %bb.0:
	s_load_dwordx2 s[14:15], s[4:5], 0x18
	s_load_dwordx4 s[8:11], s[4:5], 0x0
	s_load_dwordx2 s[12:13], s[4:5], 0x50
	v_mul_u32_u24_e32 v1, 0x556, v0
	v_add_u32_sdwa v5, s6, v1 dst_sel:DWORD dst_unused:UNUSED_PAD src0_sel:DWORD src1_sel:WORD_1
	s_waitcnt lgkmcnt(0)
	s_load_dwordx2 s[2:3], s[14:15], 0x0
	v_cmp_lt_u64_e64 s[0:1], s[10:11], 2
	v_mov_b32_e32 v3, 0
	v_mov_b32_e32 v1, 0
	;; [unrolled: 1-line block ×3, first 2 shown]
	s_and_b64 vcc, exec, s[0:1]
	v_mov_b32_e32 v2, 0
	s_cbranch_vccnz .LBB0_8
; %bb.1:
	s_load_dwordx2 s[0:1], s[4:5], 0x10
	s_add_u32 s6, s14, 8
	s_addc_u32 s7, s15, 0
	v_mov_b32_e32 v1, 0
	v_mov_b32_e32 v2, 0
	s_waitcnt lgkmcnt(0)
	s_add_u32 s16, s0, 8
	s_addc_u32 s17, s1, 0
	s_mov_b64 s[18:19], 1
.LBB0_2:                                ; =>This Inner Loop Header: Depth=1
	s_load_dwordx2 s[20:21], s[16:17], 0x0
                                        ; implicit-def: $vgpr7_vgpr8
	s_waitcnt lgkmcnt(0)
	v_or_b32_e32 v4, s21, v6
	v_cmp_ne_u64_e32 vcc, 0, v[3:4]
	s_and_saveexec_b64 s[0:1], vcc
	s_xor_b64 s[22:23], exec, s[0:1]
	s_cbranch_execz .LBB0_4
; %bb.3:                                ;   in Loop: Header=BB0_2 Depth=1
	v_cvt_f32_u32_e32 v4, s20
	v_cvt_f32_u32_e32 v7, s21
	s_sub_u32 s0, 0, s20
	s_subb_u32 s1, 0, s21
	v_mac_f32_e32 v4, 0x4f800000, v7
	v_rcp_f32_e32 v4, v4
	v_mul_f32_e32 v4, 0x5f7ffffc, v4
	v_mul_f32_e32 v7, 0x2f800000, v4
	v_trunc_f32_e32 v7, v7
	v_mac_f32_e32 v4, 0xcf800000, v7
	v_cvt_u32_f32_e32 v7, v7
	v_cvt_u32_f32_e32 v4, v4
	v_mul_lo_u32 v8, s0, v7
	v_mul_hi_u32 v9, s0, v4
	v_mul_lo_u32 v11, s1, v4
	v_mul_lo_u32 v10, s0, v4
	v_add_u32_e32 v8, v9, v8
	v_add_u32_e32 v8, v8, v11
	v_mul_hi_u32 v9, v4, v10
	v_mul_lo_u32 v11, v4, v8
	v_mul_hi_u32 v13, v4, v8
	v_mul_hi_u32 v12, v7, v10
	v_mul_lo_u32 v10, v7, v10
	v_mul_hi_u32 v14, v7, v8
	v_add_co_u32_e32 v9, vcc, v9, v11
	v_addc_co_u32_e32 v11, vcc, 0, v13, vcc
	v_mul_lo_u32 v8, v7, v8
	v_add_co_u32_e32 v9, vcc, v9, v10
	v_addc_co_u32_e32 v9, vcc, v11, v12, vcc
	v_addc_co_u32_e32 v10, vcc, 0, v14, vcc
	v_add_co_u32_e32 v8, vcc, v9, v8
	v_addc_co_u32_e32 v9, vcc, 0, v10, vcc
	v_add_co_u32_e32 v4, vcc, v4, v8
	v_addc_co_u32_e32 v7, vcc, v7, v9, vcc
	v_mul_lo_u32 v8, s0, v7
	v_mul_hi_u32 v9, s0, v4
	v_mul_lo_u32 v10, s1, v4
	v_mul_lo_u32 v11, s0, v4
	v_add_u32_e32 v8, v9, v8
	v_add_u32_e32 v8, v8, v10
	v_mul_lo_u32 v12, v4, v8
	v_mul_hi_u32 v13, v4, v11
	v_mul_hi_u32 v14, v4, v8
	;; [unrolled: 1-line block ×3, first 2 shown]
	v_mul_lo_u32 v11, v7, v11
	v_mul_hi_u32 v9, v7, v8
	v_add_co_u32_e32 v12, vcc, v13, v12
	v_addc_co_u32_e32 v13, vcc, 0, v14, vcc
	v_mul_lo_u32 v8, v7, v8
	v_add_co_u32_e32 v11, vcc, v12, v11
	v_addc_co_u32_e32 v10, vcc, v13, v10, vcc
	v_addc_co_u32_e32 v9, vcc, 0, v9, vcc
	v_add_co_u32_e32 v8, vcc, v10, v8
	v_addc_co_u32_e32 v9, vcc, 0, v9, vcc
	v_add_co_u32_e32 v4, vcc, v4, v8
	v_addc_co_u32_e32 v9, vcc, v7, v9, vcc
	v_mad_u64_u32 v[7:8], s[0:1], v5, v9, 0
	v_mul_hi_u32 v10, v5, v4
	v_add_co_u32_e32 v11, vcc, v10, v7
	v_addc_co_u32_e32 v12, vcc, 0, v8, vcc
	v_mad_u64_u32 v[7:8], s[0:1], v6, v4, 0
	v_mad_u64_u32 v[9:10], s[0:1], v6, v9, 0
	v_add_co_u32_e32 v4, vcc, v11, v7
	v_addc_co_u32_e32 v4, vcc, v12, v8, vcc
	v_addc_co_u32_e32 v7, vcc, 0, v10, vcc
	v_add_co_u32_e32 v4, vcc, v4, v9
	v_addc_co_u32_e32 v9, vcc, 0, v7, vcc
	v_mul_lo_u32 v10, s21, v4
	v_mul_lo_u32 v11, s20, v9
	v_mad_u64_u32 v[7:8], s[0:1], s20, v4, 0
	v_add3_u32 v8, v8, v11, v10
	v_sub_u32_e32 v10, v6, v8
	v_mov_b32_e32 v11, s21
	v_sub_co_u32_e32 v7, vcc, v5, v7
	v_subb_co_u32_e64 v10, s[0:1], v10, v11, vcc
	v_subrev_co_u32_e64 v11, s[0:1], s20, v7
	v_subbrev_co_u32_e64 v10, s[0:1], 0, v10, s[0:1]
	v_cmp_le_u32_e64 s[0:1], s21, v10
	v_cndmask_b32_e64 v12, 0, -1, s[0:1]
	v_cmp_le_u32_e64 s[0:1], s20, v11
	v_cndmask_b32_e64 v11, 0, -1, s[0:1]
	v_cmp_eq_u32_e64 s[0:1], s21, v10
	v_cndmask_b32_e64 v10, v12, v11, s[0:1]
	v_add_co_u32_e64 v11, s[0:1], 2, v4
	v_addc_co_u32_e64 v12, s[0:1], 0, v9, s[0:1]
	v_add_co_u32_e64 v13, s[0:1], 1, v4
	v_addc_co_u32_e64 v14, s[0:1], 0, v9, s[0:1]
	v_subb_co_u32_e32 v8, vcc, v6, v8, vcc
	v_cmp_ne_u32_e64 s[0:1], 0, v10
	v_cmp_le_u32_e32 vcc, s21, v8
	v_cndmask_b32_e64 v10, v14, v12, s[0:1]
	v_cndmask_b32_e64 v12, 0, -1, vcc
	v_cmp_le_u32_e32 vcc, s20, v7
	v_cndmask_b32_e64 v7, 0, -1, vcc
	v_cmp_eq_u32_e32 vcc, s21, v8
	v_cndmask_b32_e32 v7, v12, v7, vcc
	v_cmp_ne_u32_e32 vcc, 0, v7
	v_cndmask_b32_e64 v7, v13, v11, s[0:1]
	v_cndmask_b32_e32 v8, v9, v10, vcc
	v_cndmask_b32_e32 v7, v4, v7, vcc
.LBB0_4:                                ;   in Loop: Header=BB0_2 Depth=1
	s_andn2_saveexec_b64 s[0:1], s[22:23]
	s_cbranch_execz .LBB0_6
; %bb.5:                                ;   in Loop: Header=BB0_2 Depth=1
	v_cvt_f32_u32_e32 v4, s20
	s_sub_i32 s22, 0, s20
	v_rcp_iflag_f32_e32 v4, v4
	v_mul_f32_e32 v4, 0x4f7ffffe, v4
	v_cvt_u32_f32_e32 v4, v4
	v_mul_lo_u32 v7, s22, v4
	v_mul_hi_u32 v7, v4, v7
	v_add_u32_e32 v4, v4, v7
	v_mul_hi_u32 v4, v5, v4
	v_mul_lo_u32 v7, v4, s20
	v_add_u32_e32 v8, 1, v4
	v_sub_u32_e32 v7, v5, v7
	v_subrev_u32_e32 v9, s20, v7
	v_cmp_le_u32_e32 vcc, s20, v7
	v_cndmask_b32_e32 v7, v7, v9, vcc
	v_cndmask_b32_e32 v4, v4, v8, vcc
	v_add_u32_e32 v8, 1, v4
	v_cmp_le_u32_e32 vcc, s20, v7
	v_cndmask_b32_e32 v7, v4, v8, vcc
	v_mov_b32_e32 v8, v3
.LBB0_6:                                ;   in Loop: Header=BB0_2 Depth=1
	s_or_b64 exec, exec, s[0:1]
	v_mul_lo_u32 v4, v8, s20
	v_mul_lo_u32 v11, v7, s21
	v_mad_u64_u32 v[9:10], s[0:1], v7, s20, 0
	s_load_dwordx2 s[0:1], s[6:7], 0x0
	s_add_u32 s18, s18, 1
	v_add3_u32 v4, v10, v11, v4
	v_sub_co_u32_e32 v5, vcc, v5, v9
	v_subb_co_u32_e32 v4, vcc, v6, v4, vcc
	s_waitcnt lgkmcnt(0)
	v_mul_lo_u32 v4, s0, v4
	v_mul_lo_u32 v6, s1, v5
	v_mad_u64_u32 v[1:2], s[0:1], s0, v5, v[1:2]
	s_addc_u32 s19, s19, 0
	s_add_u32 s6, s6, 8
	v_add3_u32 v2, v6, v2, v4
	v_mov_b32_e32 v4, s10
	v_mov_b32_e32 v5, s11
	s_addc_u32 s7, s7, 0
	v_cmp_ge_u64_e32 vcc, s[18:19], v[4:5]
	s_add_u32 s16, s16, 8
	s_addc_u32 s17, s17, 0
	s_cbranch_vccnz .LBB0_9
; %bb.7:                                ;   in Loop: Header=BB0_2 Depth=1
	v_mov_b32_e32 v5, v7
	v_mov_b32_e32 v6, v8
	s_branch .LBB0_2
.LBB0_8:
	v_mov_b32_e32 v8, v6
	v_mov_b32_e32 v7, v5
.LBB0_9:
	s_lshl_b64 s[0:1], s[10:11], 3
	s_add_u32 s0, s14, s0
	s_addc_u32 s1, s15, s1
	s_load_dwordx2 s[6:7], s[0:1], 0x0
	s_load_dwordx2 s[10:11], s[4:5], 0x20
                                        ; implicit-def: $vgpr40
                                        ; implicit-def: $vgpr39
                                        ; implicit-def: $vgpr38
                                        ; implicit-def: $vgpr43
	s_waitcnt lgkmcnt(0)
	v_mad_u64_u32 v[1:2], s[0:1], s6, v7, v[1:2]
	s_mov_b32 s0, 0x5555556
	v_mul_lo_u32 v3, s6, v8
	v_mul_lo_u32 v4, s7, v7
	v_mul_hi_u32 v5, v0, s0
	v_cmp_gt_u64_e32 vcc, s[10:11], v[7:8]
	v_cmp_le_u64_e64 s[0:1], s[10:11], v[7:8]
	v_add3_u32 v2, v4, v2, v3
	v_mul_u32_u24_e32 v3, 48, v5
	v_sub_u32_e32 v36, v0, v3
	v_add_u32_e32 v37, 48, v36
                                        ; implicit-def: $sgpr6_sgpr7
                                        ; implicit-def: $sgpr10
	s_and_saveexec_b64 s[4:5], s[0:1]
	s_xor_b64 s[0:1], exec, s[4:5]
; %bb.10:
	v_add_u32_e32 v37, 48, v36
	v_add_u32_e32 v40, 0x60, v36
	;; [unrolled: 1-line block ×3, first 2 shown]
	v_or_b32_e32 v38, 0xc0, v36
	v_add_u32_e32 v43, 0xf0, v36
	s_mov_b32 s10, 0
	s_mov_b64 s[6:7], 0
; %bb.11:
	s_or_saveexec_b64 s[4:5], s[0:1]
	v_mov_b32_e32 v3, s6
	v_lshlrev_b64 v[0:1], 3, v[1:2]
	v_mov_b32_e32 v10, s7
	v_mov_b32_e32 v26, s7
	;; [unrolled: 1-line block ×16, first 2 shown]
                                        ; implicit-def: $vgpr6
                                        ; implicit-def: $vgpr12
                                        ; implicit-def: $vgpr14
                                        ; implicit-def: $vgpr8
                                        ; implicit-def: $vgpr32
                                        ; implicit-def: $vgpr24
                                        ; implicit-def: $vgpr30
                                        ; implicit-def: $vgpr34
	s_xor_b64 exec, exec, s[4:5]
	s_cbranch_execz .LBB0_13
; %bb.12:
	v_mad_u64_u32 v[2:3], s[0:1], s2, v36, 0
	v_mov_b32_e32 v6, s13
	v_add_u32_e32 v40, 0x60, v36
	v_mad_u64_u32 v[3:4], s[0:1], s3, v36, v[3:4]
	v_mad_u64_u32 v[4:5], s[0:1], s2, v37, 0
	v_add_co_u32_e64 v10, s[0:1], s12, v0
	v_addc_co_u32_e64 v11, s[0:1], v6, v1, s[0:1]
	v_mad_u64_u32 v[5:6], s[0:1], s3, v37, v[5:6]
	v_mad_u64_u32 v[6:7], s[0:1], s2, v40, 0
	v_lshlrev_b64 v[2:3], 3, v[2:3]
	v_add_u32_e32 v39, 0x90, v36
	v_add_co_u32_e64 v23, s[0:1], v10, v2
	v_addc_co_u32_e64 v24, s[0:1], v11, v3, s[0:1]
	v_lshlrev_b64 v[2:3], 3, v[4:5]
	v_mov_b32_e32 v4, v7
	v_mad_u64_u32 v[4:5], s[0:1], s3, v40, v[4:5]
	v_mad_u64_u32 v[8:9], s[0:1], s2, v39, 0
	v_add_co_u32_e64 v29, s[0:1], v10, v2
	v_mov_b32_e32 v7, v4
	v_mov_b32_e32 v4, v9
	v_addc_co_u32_e64 v30, s[0:1], v11, v3, s[0:1]
	v_mad_u64_u32 v[4:5], s[0:1], s3, v39, v[4:5]
	v_or_b32_e32 v38, 0xc0, v36
	v_lshlrev_b64 v[2:3], 3, v[6:7]
	v_mad_u64_u32 v[5:6], s[0:1], s2, v38, 0
	v_add_co_u32_e64 v31, s[0:1], v10, v2
	v_mov_b32_e32 v9, v4
	v_mov_b32_e32 v4, v6
	v_addc_co_u32_e64 v32, s[0:1], v11, v3, s[0:1]
	v_mad_u64_u32 v[6:7], s[0:1], s3, v38, v[4:5]
	v_add_u32_e32 v43, 0xf0, v36
	v_lshlrev_b64 v[2:3], 3, v[8:9]
	v_mad_u64_u32 v[7:8], s[0:1], s2, v43, 0
	v_add_co_u32_e64 v33, s[0:1], v10, v2
	v_mov_b32_e32 v4, v8
	v_addc_co_u32_e64 v34, s[0:1], v11, v3, s[0:1]
	v_lshlrev_b64 v[2:3], 3, v[5:6]
	v_mad_u64_u32 v[4:5], s[0:1], s3, v43, v[4:5]
	v_add_u32_e32 v9, 0x120, v36
	v_mad_u64_u32 v[5:6], s[0:1], s2, v9, 0
	v_add_co_u32_e64 v41, s[0:1], v10, v2
	v_mov_b32_e32 v8, v4
	v_mov_b32_e32 v4, v6
	v_addc_co_u32_e64 v42, s[0:1], v11, v3, s[0:1]
	v_lshlrev_b64 v[2:3], 3, v[7:8]
	v_mad_u64_u32 v[6:7], s[0:1], s3, v9, v[4:5]
	v_add_u32_e32 v9, 0x150, v36
	v_mad_u64_u32 v[7:8], s[0:1], s2, v9, 0
	v_add_co_u32_e64 v44, s[0:1], v10, v2
	v_mov_b32_e32 v4, v8
	v_addc_co_u32_e64 v45, s[0:1], v11, v3, s[0:1]
	v_lshlrev_b64 v[2:3], 3, v[5:6]
	v_mad_u64_u32 v[4:5], s[0:1], s3, v9, v[4:5]
	v_or_b32_e32 v9, 0x180, v36
	v_mad_u64_u32 v[5:6], s[0:1], s2, v9, 0
	v_add_co_u32_e64 v46, s[0:1], v10, v2
	v_mov_b32_e32 v8, v4
	v_mov_b32_e32 v4, v6
	v_addc_co_u32_e64 v47, s[0:1], v11, v3, s[0:1]
	v_lshlrev_b64 v[2:3], 3, v[7:8]
	v_mad_u64_u32 v[6:7], s[0:1], s3, v9, v[4:5]
	v_add_u32_e32 v9, 0x1b0, v36
	v_mad_u64_u32 v[7:8], s[0:1], s2, v9, 0
	v_add_co_u32_e64 v48, s[0:1], v10, v2
	v_mov_b32_e32 v4, v8
	v_addc_co_u32_e64 v49, s[0:1], v11, v3, s[0:1]
	v_lshlrev_b64 v[2:3], 3, v[5:6]
	v_mad_u64_u32 v[4:5], s[0:1], s3, v9, v[4:5]
	v_add_u32_e32 v9, 0x1e0, v36
	v_mad_u64_u32 v[5:6], s[0:1], s2, v9, 0
	v_add_co_u32_e64 v50, s[0:1], v10, v2
	v_mov_b32_e32 v8, v4
	v_mov_b32_e32 v4, v6
	v_addc_co_u32_e64 v51, s[0:1], v11, v3, s[0:1]
	v_lshlrev_b64 v[2:3], 3, v[7:8]
	v_mad_u64_u32 v[6:7], s[0:1], s3, v9, v[4:5]
	v_add_u32_e32 v9, 0x210, v36
	v_mad_u64_u32 v[7:8], s[0:1], s2, v9, 0
	v_add_co_u32_e64 v52, s[0:1], v10, v2
	v_mov_b32_e32 v4, v8
	v_addc_co_u32_e64 v53, s[0:1], v11, v3, s[0:1]
	v_lshlrev_b64 v[2:3], 3, v[5:6]
	v_mad_u64_u32 v[4:5], s[0:1], s3, v9, v[4:5]
	v_or_b32_e32 v9, 0x240, v36
	v_mad_u64_u32 v[5:6], s[0:1], s2, v9, 0
	v_add_co_u32_e64 v54, s[0:1], v10, v2
	v_mov_b32_e32 v8, v4
	v_mov_b32_e32 v4, v6
	v_addc_co_u32_e64 v55, s[0:1], v11, v3, s[0:1]
	v_lshlrev_b64 v[2:3], 3, v[7:8]
	v_mad_u64_u32 v[6:7], s[0:1], s3, v9, v[4:5]
	v_add_u32_e32 v9, 0x270, v36
	v_mad_u64_u32 v[7:8], s[0:1], s2, v9, 0
	v_add_co_u32_e64 v56, s[0:1], v10, v2
	v_mov_b32_e32 v4, v8
	v_addc_co_u32_e64 v57, s[0:1], v11, v3, s[0:1]
	v_lshlrev_b64 v[2:3], 3, v[5:6]
	v_mad_u64_u32 v[4:5], s[0:1], s3, v9, v[4:5]
	v_add_u32_e32 v9, 0x2a0, v36
	v_mad_u64_u32 v[5:6], s[0:1], s2, v9, 0
	v_add_co_u32_e64 v58, s[0:1], v10, v2
	v_mov_b32_e32 v8, v4
	v_mov_b32_e32 v4, v6
	v_addc_co_u32_e64 v59, s[0:1], v11, v3, s[0:1]
	v_lshlrev_b64 v[2:3], 3, v[7:8]
	v_mad_u64_u32 v[6:7], s[0:1], s3, v9, v[4:5]
	v_add_u32_e32 v9, 0x2d0, v36
	v_mad_u64_u32 v[7:8], s[0:1], s2, v9, 0
	v_add_co_u32_e64 v60, s[0:1], v10, v2
	v_mov_b32_e32 v4, v8
	v_addc_co_u32_e64 v61, s[0:1], v11, v3, s[0:1]
	v_lshlrev_b64 v[2:3], 3, v[5:6]
	v_mad_u64_u32 v[4:5], s[0:1], s3, v9, v[4:5]
	v_add_co_u32_e64 v62, s[0:1], v10, v2
	v_mov_b32_e32 v8, v4
	v_addc_co_u32_e64 v63, s[0:1], v11, v3, s[0:1]
	v_lshlrev_b64 v[2:3], 3, v[7:8]
	v_mov_b32_e32 v35, v36
	v_add_co_u32_e64 v64, s[0:1], v10, v2
	v_addc_co_u32_e64 v65, s[0:1], v11, v3, s[0:1]
	global_load_dwordx2 v[3:4], v[23:24], off
	global_load_dwordx2 v[19:20], v[29:30], off
	;; [unrolled: 1-line block ×12, first 2 shown]
                                        ; kill: killed $vgpr41 killed $vgpr42
                                        ; kill: killed $vgpr23 killed $vgpr24
                                        ; kill: killed $vgpr56 killed $vgpr57
                                        ; kill: killed $vgpr48 killed $vgpr49
                                        ; kill: killed $vgpr33 killed $vgpr34
                                        ; kill: killed $vgpr50 killed $vgpr51
                                        ; kill: killed $vgpr54 killed $vgpr55
                                        ; kill: killed $vgpr31 killed $vgpr32
                                        ; kill: killed $vgpr44 killed $vgpr45
                                        ; kill: killed $vgpr29 killed $vgpr30
                                        ; kill: killed $vgpr52 killed $vgpr53
                                        ; kill: killed $vgpr46 killed $vgpr47
	global_load_dwordx2 v[31:32], v[58:59], off
	global_load_dwordx2 v[23:24], v[60:61], off
	;; [unrolled: 1-line block ×4, first 2 shown]
.LBB0_13:
	s_or_b64 exec, exec, s[4:5]
	s_waitcnt vmcnt(3)
	v_sub_f32_e32 v45, v9, v31
	v_sub_f32_e32 v31, v26, v14
	;; [unrolled: 1-line block ×3, first 2 shown]
	s_waitcnt vmcnt(2)
	v_sub_f32_e32 v14, v21, v23
	v_sub_f32_e32 v8, v16, v8
	;; [unrolled: 1-line block ×4, first 2 shown]
	v_fma_f32 v41, v16, 2.0, -v8
	s_waitcnt vmcnt(0)
	v_sub_f32_e32 v16, v17, v33
	v_sub_f32_e32 v33, v12, v14
	v_sub_f32_e32 v2, v25, v13
	v_fma_f32 v13, v26, 2.0, -v31
	v_sub_f32_e32 v26, v27, v29
	v_sub_f32_e32 v29, v28, v30
	v_fma_f32 v20, v20, 2.0, -v12
	v_sub_f32_e32 v7, v15, v7
	v_sub_f32_e32 v24, v18, v34
	v_fma_f32 v17, v17, 2.0, -v16
	v_add_f32_e32 v30, v11, v23
	v_fma_f32 v12, v12, 2.0, -v33
	v_sub_f32_e32 v16, v8, v16
	v_sub_f32_e32 v46, v10, v32
	v_fma_f32 v32, v25, 2.0, -v2
	v_fma_f32 v25, v27, 2.0, -v26
	;; [unrolled: 1-line block ×5, first 2 shown]
	v_add_f32_e32 v27, v7, v24
	v_fma_f32 v8, v8, 2.0, -v16
	v_mov_b32_e32 v14, v12
	v_fma_f32 v22, v22, 2.0, -v23
	v_fma_f32 v15, v15, 2.0, -v7
	;; [unrolled: 1-line block ×3, first 2 shown]
	v_mov_b32_e32 v7, v11
	v_fmac_f32_e32 v14, 0xbf3504f3, v8
	v_fmac_f32_e32 v7, 0xbf3504f3, v23
	v_fmac_f32_e32 v14, 0xbf3504f3, v23
	v_mov_b32_e32 v23, v30
	v_sub_f32_e32 v5, v3, v5
	v_fma_f32 v18, v18, 2.0, -v24
	v_fmac_f32_e32 v7, 0x3f3504f3, v8
	v_fmac_f32_e32 v23, 0x3f3504f3, v27
	v_mov_b32_e32 v24, v33
	v_fma_f32 v3, v3, 2.0, -v5
	v_fma_f32 v8, v9, 2.0, -v45
	v_add_f32_e32 v34, v5, v46
	v_sub_f32_e32 v25, v32, v25
	v_fmac_f32_e32 v24, 0x3f3504f3, v16
	v_fmac_f32_e32 v23, 0x3f3504f3, v16
	v_sub_f32_e32 v16, v3, v8
	v_fma_f32 v5, v5, 2.0, -v34
	v_fma_f32 v8, v32, 2.0, -v25
	v_add_f32_e32 v32, v2, v29
	v_sub_f32_e32 v42, v31, v26
	v_fma_f32 v44, v2, 2.0, -v32
	v_mov_b32_e32 v47, v5
	v_fma_f32 v31, v31, 2.0, -v42
	v_fmac_f32_e32 v47, 0xbf3504f3, v44
	v_sub_f32_e32 v21, v19, v21
	v_sub_f32_e32 v17, v15, v17
	v_fmac_f32_e32 v47, 0x3f3504f3, v31
	v_fma_f32 v3, v3, 2.0, -v16
	v_fma_f32 v2, v19, 2.0, -v21
	;; [unrolled: 1-line block ×5, first 2 shown]
	v_sub_f32_e32 v19, v3, v8
	v_sub_f32_e32 v5, v2, v9
	v_fma_f32 v26, v11, 2.0, -v7
	v_mov_b32_e32 v9, v15
	v_mov_b32_e32 v52, v34
	v_fmac_f32_e32 v24, 0xbf3504f3, v27
	v_fma_f32 v3, v3, 2.0, -v19
	v_fma_f32 v2, v2, 2.0, -v5
	;; [unrolled: 1-line block ×3, first 2 shown]
	v_fmac_f32_e32 v9, 0xbf6c835e, v26
	v_sub_f32_e32 v49, v13, v28
	v_fmac_f32_e32 v52, 0x3f3504f3, v32
	v_sub_f32_e32 v8, v3, v2
	;; [unrolled: 2-line block ×3, first 2 shown]
	v_add_f32_e32 v48, v16, v49
	v_fmac_f32_e32 v52, 0x3f3504f3, v42
	v_fma_f32 v2, v3, 2.0, -v8
	v_fma_f32 v3, v15, 2.0, -v9
	v_sub_f32_e32 v22, v20, v22
	v_fma_f32 v15, v16, 2.0, -v48
	v_fma_f32 v16, v34, 2.0, -v52
	v_add_f32_e32 v53, v21, v18
	v_sub_f32_e32 v34, v22, v17
	v_fma_f32 v21, v21, 2.0, -v53
	v_fma_f32 v29, v30, 2.0, -v23
	v_mov_b32_e32 v11, v15
	v_mov_b32_e32 v12, v16
	v_fma_f32 v30, v33, 2.0, -v24
	v_fmac_f32_e32 v11, 0xbf3504f3, v21
	v_fma_f32 v33, v22, 2.0, -v34
	v_fmac_f32_e32 v12, 0xbec3ef15, v29
	v_fmac_f32_e32 v11, 0x3f3504f3, v33
	;; [unrolled: 1-line block ×3, first 2 shown]
	v_fma_f32 v15, v15, 2.0, -v11
	v_fma_f32 v16, v16, 2.0, -v12
	v_lshl_add_u32 v28, v36, 6, 0
	ds_write2_b64 v28, v[2:3], v[15:16] offset1:1
	v_fma_f32 v50, v20, 2.0, -v22
	v_fma_f32 v2, v41, 2.0, -v18
	v_sub_f32_e32 v51, v50, v2
	v_mov_b32_e32 v16, v47
	v_mov_b32_e32 v2, v48
	;; [unrolled: 1-line block ×3, first 2 shown]
	v_fmac_f32_e32 v16, 0x3ec3ef15, v7
	v_fmac_f32_e32 v2, 0x3f3504f3, v53
	;; [unrolled: 1-line block ×3, first 2 shown]
	v_add_f32_e32 v15, v19, v51
	v_fmac_f32_e32 v16, 0x3f6c835e, v14
	v_fmac_f32_e32 v2, 0x3f3504f3, v34
	;; [unrolled: 1-line block ×3, first 2 shown]
	v_fma_f32 v17, v19, 2.0, -v15
	v_fma_f32 v18, v47, 2.0, -v16
	;; [unrolled: 1-line block ×4, first 2 shown]
	s_movk_i32 s0, 0xffc4
	ds_write2_b64 v28, v[17:18], v[19:20] offset0:2 offset1:3
	ds_write2_b64 v28, v[8:9], v[11:12] offset0:4 offset1:5
	;; [unrolled: 1-line block ×3, first 2 shown]
	v_mul_f32_e32 v60, 0x3f3504f3, v31
	v_mad_i32_i24 v8, v36, s0, v28
	v_lshl_add_u32 v31, v37, 2, 0
	v_mul_f32_e32 v59, 0x3f3504f3, v44
	v_mul_f32_e32 v58, 0x3f3504f3, v42
	;; [unrolled: 1-line block ×5, first 2 shown]
	s_waitcnt lgkmcnt(0)
	; wave barrier
	s_waitcnt lgkmcnt(0)
	v_add_u32_e32 v11, 0x800, v8
	v_add_u32_e32 v12, 0x400, v8
	v_lshl_add_u32 v33, v40, 2, 0
	v_lshl_add_u32 v41, v39, 2, 0
	;; [unrolled: 1-line block ×3, first 2 shown]
	ds_read_b32 v48, v31
	ds_read_b32 v47, v33
	;; [unrolled: 1-line block ×4, first 2 shown]
	ds_read_b32 v53, v8 offset:2816
	ds_read2st64_b32 v[8:9], v8 offset1:4
	ds_read2_b32 v[21:22], v11 offset1:48
	ds_read2_b32 v[17:18], v11 offset0:96 offset1:144
	ds_read2_b32 v[19:20], v12 offset0:48 offset1:96
	ds_read2_b32 v[15:16], v12 offset0:144 offset1:192
	v_mul_i32_i24_e32 v11, 0xffffffc4, v36
	v_mul_f32_e32 v57, 0x3f3504f3, v32
	v_mul_f32_e32 v54, 0x3f3504f3, v34
	v_cmp_gt_u32_e64 s[0:1], 16, v36
	v_add_u32_e32 v34, v28, v11
	v_lshl_add_u32 v32, v43, 2, 0
                                        ; implicit-def: $vgpr12
	s_and_saveexec_b64 s[4:5], s[0:1]
	s_cbranch_execz .LBB0_15
; %bb.14:
	v_add_u32_e32 v11, 0xc0, v34
	ds_read_b32 v3, v32
	ds_read2st64_b32 v[11:12], v11 offset0:7 offset1:11
.LBB0_15:
	s_or_b64 exec, exec, s[4:5]
	v_sub_f32_e32 v6, v4, v6
	v_fma_f32 v4, v4, 2.0, -v6
	v_fma_f32 v10, v10, 2.0, -v46
	v_sub_f32_e32 v43, v6, v45
	v_sub_f32_e32 v10, v4, v10
	v_fma_f32 v6, v6, 2.0, -v43
	v_sub_f32_e32 v45, v6, v60
	v_sub_f32_e32 v60, v10, v25
	v_add_f32_e32 v25, v43, v58
	v_fma_f32 v4, v4, 2.0, -v10
	v_fma_f32 v13, v13, 2.0, -v49
	v_sub_f32_e32 v57, v25, v57
	v_sub_f32_e32 v13, v4, v13
	;; [unrolled: 1-line block ×3, first 2 shown]
	v_fma_f32 v43, v43, 2.0, -v57
	v_fma_f32 v4, v4, 2.0, -v13
	;; [unrolled: 1-line block ×4, first 2 shown]
	v_mov_b32_e32 v50, v43
	v_fma_f32 v10, v10, 2.0, -v60
	v_sub_f32_e32 v45, v4, v25
	v_mov_b32_e32 v46, v6
	v_fmac_f32_e32 v50, 0xbec3ef15, v30
	v_fma_f32 v25, v4, 2.0, -v45
	v_fmac_f32_e32 v46, 0xbf6c835e, v27
	v_sub_f32_e32 v4, v10, v56
	v_fmac_f32_e32 v50, 0xbf6c835e, v29
	v_sub_f32_e32 v29, v13, v5
	v_mov_b32_e32 v30, v59
	v_mov_b32_e32 v5, v57
	v_fmac_f32_e32 v46, 0xbec3ef15, v26
	v_sub_f32_e32 v49, v4, v55
	v_fmac_f32_e32 v30, 0x3ec3ef15, v14
	v_add_f32_e32 v4, v60, v54
	v_fmac_f32_e32 v5, 0x3f6c835e, v24
	v_fma_f32 v26, v6, 2.0, -v46
	v_fma_f32 v55, v10, 2.0, -v49
	;; [unrolled: 1-line block ×3, first 2 shown]
	v_fmac_f32_e32 v30, 0xbf6c835e, v7
	v_sub_f32_e32 v4, v4, v52
	v_fmac_f32_e32 v5, 0xbec3ef15, v23
	v_fma_f32 v6, v13, 2.0, -v29
	v_fma_f32 v7, v59, 2.0, -v30
	;; [unrolled: 1-line block ×4, first 2 shown]
	s_waitcnt lgkmcnt(0)
	; wave barrier
	s_waitcnt lgkmcnt(0)
	ds_write2_b64 v28, v[25:26], v[55:56] offset1:1
	ds_write2_b64 v28, v[6:7], v[13:14] offset0:2 offset1:3
	ds_write2_b64 v28, v[45:46], v[49:50] offset0:4 offset1:5
	ds_write2_b64 v28, v[29:30], v[4:5] offset0:6 offset1:7
	v_add_u32_e32 v4, 0x800, v34
	v_add_u32_e32 v10, 0x400, v34
	s_waitcnt lgkmcnt(0)
	; wave barrier
	s_waitcnt lgkmcnt(0)
	ds_read2st64_b32 v[6:7], v34 offset1:4
	ds_read2_b32 v[29:30], v4 offset1:48
	ds_read2_b32 v[27:28], v10 offset0:48 offset1:96
	ds_read2_b32 v[25:26], v4 offset0:96 offset1:144
	;; [unrolled: 1-line block ×3, first 2 shown]
	ds_read_b32 v46, v31
	ds_read_b32 v45, v33
	;; [unrolled: 1-line block ×4, first 2 shown]
	ds_read_b32 v54, v34 offset:2816
                                        ; implicit-def: $vgpr14
	s_and_saveexec_b64 s[4:5], s[0:1]
	s_cbranch_execz .LBB0_17
; %bb.16:
	v_add_u32_e32 v10, 0xc0, v34
	ds_read_b32 v5, v32
	ds_read2st64_b32 v[13:14], v10 offset0:7 offset1:11
.LBB0_17:
	s_or_b64 exec, exec, s[4:5]
	v_and_b32_e32 v59, 15, v36
	v_lshlrev_b32_e32 v10, 4, v59
	global_load_dwordx4 v[55:58], v10, s[8:9]
	s_waitcnt vmcnt(0) lgkmcnt(9)
	v_mul_f32_e32 v49, v7, v56
	v_fmac_f32_e32 v49, v9, v55
	v_mul_f32_e32 v9, v9, v56
	v_fma_f32 v51, v7, v55, -v9
	v_mul_f32_e32 v7, v21, v58
	s_waitcnt lgkmcnt(8)
	v_fma_f32 v52, v29, v57, -v7
	v_mul_f32_e32 v7, v19, v56
	v_mul_f32_e32 v50, v29, v58
	s_waitcnt lgkmcnt(7)
	v_fma_f32 v29, v27, v55, -v7
	v_mul_f32_e32 v7, v22, v58
	v_fmac_f32_e32 v50, v21, v57
	v_mul_f32_e32 v21, v27, v56
	v_mul_f32_e32 v27, v30, v58
	v_fma_f32 v30, v30, v57, -v7
	v_mul_f32_e32 v7, v20, v56
	v_fmac_f32_e32 v27, v22, v57
	v_fma_f32 v22, v28, v55, -v7
	v_mul_f32_e32 v7, v17, v58
	v_fmac_f32_e32 v21, v19, v55
	v_mul_f32_e32 v10, v28, v56
	s_waitcnt lgkmcnt(6)
	v_mul_f32_e32 v19, v25, v58
	v_fma_f32 v25, v25, v57, -v7
	v_mul_f32_e32 v7, v15, v56
	v_fmac_f32_e32 v10, v20, v55
	s_waitcnt lgkmcnt(5)
	v_mul_f32_e32 v9, v23, v56
	v_fma_f32 v20, v23, v55, -v7
	v_mul_f32_e32 v7, v18, v58
	v_fmac_f32_e32 v9, v15, v55
	v_fma_f32 v23, v26, v57, -v7
	v_mul_f32_e32 v7, v24, v56
	v_mul_f32_e32 v15, v16, v56
	v_fmac_f32_e32 v19, v17, v57
	v_mul_f32_e32 v17, v26, v58
	v_fmac_f32_e32 v7, v16, v55
	v_fma_f32 v16, v24, v55, -v15
	v_lshlrev_b32_e32 v24, 4, v36
	v_fmac_f32_e32 v17, v18, v57
	s_waitcnt lgkmcnt(0)
	v_mul_f32_e32 v15, v54, v58
	v_mul_f32_e32 v18, v53, v58
	v_and_b32_e32 v24, 0xf0, v24
	v_fmac_f32_e32 v15, v53, v57
	v_fma_f32 v18, v54, v57, -v18
	global_load_dwordx4 v[53:56], v24, s[8:9]
	s_waitcnt lgkmcnt(0)
	; wave barrier
	s_waitcnt vmcnt(0)
	v_mul_f32_e32 v24, v13, v54
	v_fmac_f32_e32 v24, v11, v53
	v_mul_f32_e32 v11, v11, v54
	v_mul_f32_e32 v28, v14, v56
	v_fma_f32 v26, v13, v53, -v11
	v_fmac_f32_e32 v28, v12, v55
	v_mul_f32_e32 v11, v12, v56
	v_add_f32_e32 v12, v49, v50
	v_fma_f32 v53, v14, v55, -v11
	v_add_f32_e32 v11, v8, v49
	v_fmac_f32_e32 v8, -0.5, v12
	v_sub_f32_e32 v12, v51, v52
	v_mov_b32_e32 v13, v8
	v_add_f32_e32 v14, v21, v27
	v_fmac_f32_e32 v13, 0xbf5db3d7, v12
	v_fmac_f32_e32 v8, 0x3f5db3d7, v12
	v_add_f32_e32 v12, v48, v21
	v_fmac_f32_e32 v48, -0.5, v14
	v_sub_f32_e32 v14, v29, v30
	v_mov_b32_e32 v55, v48
	v_add_f32_e32 v54, v10, v19
	v_fmac_f32_e32 v55, 0xbf5db3d7, v14
	v_fmac_f32_e32 v48, 0x3f5db3d7, v14
	v_add_f32_e32 v14, v47, v10
	v_fmac_f32_e32 v47, -0.5, v54
	v_sub_f32_e32 v54, v22, v25
	v_mov_b32_e32 v56, v47
	v_fmac_f32_e32 v56, 0xbf5db3d7, v54
	v_fmac_f32_e32 v47, 0x3f5db3d7, v54
	v_add_f32_e32 v54, v44, v9
	v_add_f32_e32 v57, v54, v17
	v_add_f32_e32 v54, v9, v17
	v_fmac_f32_e32 v44, -0.5, v54
	v_sub_f32_e32 v54, v20, v23
	v_mov_b32_e32 v58, v44
	v_fmac_f32_e32 v58, 0xbf5db3d7, v54
	v_fmac_f32_e32 v44, 0x3f5db3d7, v54
	v_add_f32_e32 v54, v2, v7
	v_add_f32_e32 v60, v54, v15
	;; [unrolled: 1-line block ×3, first 2 shown]
	v_fmac_f32_e32 v2, -0.5, v54
	v_sub_f32_e32 v54, v16, v18
	v_mov_b32_e32 v61, v2
	v_fmac_f32_e32 v61, 0xbf5db3d7, v54
	v_fmac_f32_e32 v2, 0x3f5db3d7, v54
	v_lshrrev_b32_e32 v54, 4, v36
	v_mul_u32_u24_e32 v54, 48, v54
	v_or_b32_e32 v54, v54, v59
	v_add_f32_e32 v11, v11, v50
	v_lshl_add_u32 v54, v54, 2, 0
	ds_write2_b32 v54, v11, v13 offset1:16
	ds_write_b32 v54, v8 offset:128
	v_lshrrev_b32_e32 v8, 4, v37
	v_mul_lo_u32 v8, v8, 48
	v_add_f32_e32 v12, v12, v27
	v_add_f32_e32 v14, v14, v19
	v_or_b32_e32 v8, v8, v59
	v_lshl_add_u32 v37, v8, 2, 0
	v_lshrrev_b32_e32 v8, 4, v40
	v_mul_lo_u32 v8, v8, 48
	ds_write2_b32 v37, v12, v55 offset1:16
	ds_write_b32 v37, v48 offset:128
	v_or_b32_e32 v8, v8, v59
	v_lshl_add_u32 v40, v8, 2, 0
	v_lshrrev_b32_e32 v8, 4, v39
	v_mul_lo_u32 v8, v8, 48
	ds_write2_b32 v40, v14, v56 offset1:16
	ds_write_b32 v40, v47 offset:128
	;; [unrolled: 6-line block ×3, first 2 shown]
	v_lshl_add_u32 v38, v36, 2, 0
	v_or_b32_e32 v8, v8, v59
	v_lshl_add_u32 v44, v8, 2, 0
	ds_write2_b32 v44, v60, v61 offset1:16
	ds_write_b32 v44, v2 offset:128
	s_and_saveexec_b64 s[4:5], s[0:1]
	s_cbranch_execz .LBB0_19
; %bb.18:
	v_add_f32_e32 v2, v24, v28
	v_fma_f32 v2, -0.5, v2, v3
	v_sub_f32_e32 v8, v26, v53
	v_mov_b32_e32 v11, v2
	v_add_f32_e32 v3, v3, v24
	v_fmac_f32_e32 v11, 0x3f5db3d7, v8
	v_fmac_f32_e32 v2, 0xbf5db3d7, v8
	v_add_f32_e32 v3, v3, v28
	v_add_u32_e32 v8, 0x800, v38
	ds_write2_b32 v8, v3, v2 offset0:208 offset1:224
	ds_write_b32 v38, v11 offset:3008
.LBB0_19:
	s_or_b64 exec, exec, s[4:5]
	v_add_f32_e32 v2, v6, v51
	v_add_f32_e32 v47, v2, v52
	v_add_f32_e32 v2, v51, v52
	v_fmac_f32_e32 v6, -0.5, v2
	v_sub_f32_e32 v2, v49, v50
	v_mov_b32_e32 v48, v6
	v_fmac_f32_e32 v48, 0x3f5db3d7, v2
	v_fmac_f32_e32 v6, 0xbf5db3d7, v2
	v_add_f32_e32 v2, v46, v29
	v_add_f32_e32 v49, v2, v30
	v_add_f32_e32 v2, v29, v30
	v_fmac_f32_e32 v46, -0.5, v2
	v_sub_f32_e32 v2, v21, v27
	v_mov_b32_e32 v21, v46
	v_fmac_f32_e32 v21, 0x3f5db3d7, v2
	v_fmac_f32_e32 v46, 0xbf5db3d7, v2
	;; [unrolled: 8-line block ×4, first 2 shown]
	v_add_f32_e32 v2, v4, v16
	v_add_f32_e32 v29, v2, v18
	;; [unrolled: 1-line block ×3, first 2 shown]
	v_fmac_f32_e32 v4, -0.5, v2
	v_sub_f32_e32 v2, v7, v15
	s_waitcnt lgkmcnt(0)
	; wave barrier
	s_waitcnt lgkmcnt(0)
	ds_read_b32 v19, v31
	ds_read_b32 v20, v33
	;; [unrolled: 1-line block ×6, first 2 shown]
	v_mov_b32_e32 v30, v4
	v_fmac_f32_e32 v30, 0x3f5db3d7, v2
	v_fmac_f32_e32 v4, 0xbf5db3d7, v2
	v_add_u32_e32 v2, 0x400, v34
	v_add_u32_e32 v7, 0x600, v34
	;; [unrolled: 1-line block ×3, first 2 shown]
	ds_read2_b32 v[11:12], v2 offset0:32 offset1:80
	ds_read2_b32 v[2:3], v2 offset0:128 offset1:176
	;; [unrolled: 1-line block ×5, first 2 shown]
	s_waitcnt lgkmcnt(0)
	; wave barrier
	s_waitcnt lgkmcnt(0)
	ds_write2_b32 v54, v47, v48 offset1:16
	ds_write_b32 v54, v6 offset:128
	ds_write2_b32 v37, v49, v21 offset1:16
	ds_write_b32 v37, v46 offset:128
	;; [unrolled: 2-line block ×5, first 2 shown]
	s_and_saveexec_b64 s[4:5], s[0:1]
	s_cbranch_execz .LBB0_21
; %bb.20:
	v_add_f32_e32 v6, v26, v53
	v_add_f32_e32 v4, v5, v26
	v_fmac_f32_e32 v5, -0.5, v6
	v_sub_f32_e32 v6, v24, v28
	v_mov_b32_e32 v21, v5
	v_add_f32_e32 v4, v4, v53
	v_fmac_f32_e32 v21, 0x3f5db3d7, v6
	v_fmac_f32_e32 v5, 0xbf5db3d7, v6
	v_add_u32_e32 v6, 0x800, v38
	ds_write2_b32 v6, v4, v21 offset0:208 offset1:224
	ds_write_b32 v38, v5 offset:3008
.LBB0_21:
	s_or_b64 exec, exec, s[4:5]
	s_waitcnt lgkmcnt(0)
	; wave barrier
	s_waitcnt lgkmcnt(0)
	s_and_saveexec_b64 s[0:1], vcc
	s_cbranch_execz .LBB0_23
; %bb.22:
	v_mul_u32_u24_e32 v4, 15, v36
	v_lshlrev_b32_e32 v6, 3, v4
	global_load_dwordx4 v[21:24], v6, s[8:9] offset:256
	global_load_dwordx4 v[25:28], v6, s[8:9] offset:288
	global_load_dwordx2 v[4:5], v6, s[8:9] offset:368
	global_load_dwordx4 v[36:39], v6, s[8:9] offset:352
	global_load_dwordx4 v[43:46], v6, s[8:9] offset:320
	;; [unrolled: 1-line block ×5, first 2 shown]
	v_add_u32_e32 v6, 0x600, v34
	v_add_u32_e32 v29, 0x400, v34
	;; [unrolled: 1-line block ×3, first 2 shown]
	ds_read_b32 v40, v42
	ds_read_b32 v41, v41
	;; [unrolled: 1-line block ×6, first 2 shown]
	s_waitcnt vmcnt(7)
	v_mul_f32_e32 v42, v20, v24
	s_waitcnt lgkmcnt(3)
	v_mul_f32_e32 v59, v33, v24
	v_fma_f32 v33, v33, v23, -v42
	v_mul_f32_e32 v24, v19, v22
	s_waitcnt lgkmcnt(2)
	v_mul_f32_e32 v42, v31, v22
	v_fmac_f32_e32 v59, v20, v23
	v_fma_f32 v31, v31, v21, -v24
	v_fmac_f32_e32 v42, v19, v21
	ds_read2_b32 v[19:20], v29 offset0:32 offset1:80
	ds_read2_b32 v[21:22], v30 offset0:160 offset1:208
	s_waitcnt vmcnt(6)
	v_mul_f32_e32 v60, v11, v27
	v_mul_f32_e32 v61, v18, v25
	;; [unrolled: 1-line block ×4, first 2 shown]
	s_waitcnt lgkmcnt(2)
	v_fma_f32 v25, v32, v25, -v18
	s_waitcnt lgkmcnt(1)
	v_fmac_f32_e32 v60, v19, v28
	v_fma_f32 v11, v19, v27, -v11
	ds_read2_b32 v[18:19], v6 offset0:96 offset1:144
	ds_read2_b32 v[23:24], v29 offset0:128 offset1:176
	s_waitcnt vmcnt(5)
	v_mul_f32_e32 v6, v14, v4
	v_mul_f32_e32 v14, v14, v5
	s_waitcnt lgkmcnt(2)
	v_fmac_f32_e32 v6, v22, v5
	v_fma_f32 v14, v22, v4, -v14
	ds_read2_b32 v[4:5], v30 offset0:64 offset1:112
	s_waitcnt vmcnt(4)
	v_mul_f32_e32 v22, v13, v38
	v_mul_f32_e32 v13, v13, v39
	v_fmac_f32_e32 v61, v32, v26
	v_fmac_f32_e32 v22, v21, v39
	v_fma_f32 v13, v21, v38, -v13
	v_mul_f32_e32 v21, v8, v36
	v_mul_f32_e32 v8, v8, v37
	s_waitcnt vmcnt(2)
	v_mul_f32_e32 v29, v12, v47
	v_mul_f32_e32 v12, v12, v48
	s_waitcnt lgkmcnt(2)
	v_mul_f32_e32 v30, v18, v46
	s_waitcnt vmcnt(0)
	v_mul_f32_e32 v32, v10, v56
	v_mul_f32_e32 v26, v9, v46
	s_waitcnt lgkmcnt(0)
	v_fmac_f32_e32 v21, v5, v37
	v_fma_f32 v5, v5, v36, -v8
	v_mul_f32_e32 v8, v2, v50
	v_mul_f32_e32 v27, v17, v53
	;; [unrolled: 1-line block ×3, first 2 shown]
	v_fmac_f32_e32 v29, v20, v48
	v_fma_f32 v12, v20, v47, -v12
	v_mul_f32_e32 v20, v16, v52
	v_mul_f32_e32 v36, v41, v52
	v_fmac_f32_e32 v30, v9, v45
	v_fma_f32 v9, v19, v55, -v32
	v_mul_f32_e32 v19, v19, v56
	v_fma_f32 v20, v41, v51, -v20
	v_mul_f32_e32 v17, v17, v54
	v_fma_f32 v18, v18, v45, -v26
	v_fma_f32 v8, v23, v49, -v8
	v_fmac_f32_e32 v27, v40, v54
	v_fmac_f32_e32 v28, v4, v58
	v_fmac_f32_e32 v36, v16, v51
	v_fmac_f32_e32 v19, v10, v55
	v_fma_f32 v16, v40, v53, -v17
	v_sub_f32_e32 v17, v33, v18
	v_sub_f32_e32 v18, v60, v22
	;; [unrolled: 1-line block ×5, first 2 shown]
	v_mul_f32_e32 v9, v3, v44
	v_sub_f32_e32 v10, v12, v14
	v_sub_f32_e32 v14, v36, v19
	v_mul_f32_e32 v19, v24, v44
	v_fma_f32 v9, v24, v43, -v9
	v_fmac_f32_e32 v19, v3, v43
	v_sub_f32_e32 v43, v25, v5
	v_mul_f32_e32 v5, v7, v58
	v_fma_f32 v4, v4, v57, -v5
	v_sub_f32_e32 v7, v16, v4
	v_mul_f32_e32 v4, v23, v50
	v_sub_f32_e32 v6, v29, v6
	v_fmac_f32_e32 v4, v2, v49
	v_sub_f32_e32 v13, v11, v13
	v_sub_f32_e32 v26, v59, v30
	;; [unrolled: 1-line block ×8, first 2 shown]
	v_fma_f32 v36, v36, 2.0, -v14
	v_fma_f32 v6, v29, 2.0, -v6
	v_sub_f32_e32 v30, v17, v18
	v_add_f32_e32 v37, v26, v13
	v_mov_b32_e32 v39, v32
	v_sub_f32_e32 v21, v40, v9
	v_add_f32_e32 v44, v19, v43
	v_add_f32_e32 v46, v23, v7
	v_sub_f32_e32 v29, v36, v6
	v_fma_f32 v20, v20, 2.0, -v28
	v_fma_f32 v6, v12, 2.0, -v10
	v_fmac_f32_e32 v39, 0x3f3504f3, v30
	v_add_f32_e32 v24, v14, v10
	v_mov_b32_e32 v45, v44
	v_mov_b32_e32 v47, v46
	v_fma_f32 v7, v16, 2.0, -v7
	v_fma_f32 v16, v59, 2.0, -v26
	v_sub_f32_e32 v50, v20, v6
	v_fma_f32 v42, v42, 2.0, -v19
	v_fma_f32 v6, v61, 2.0, -v9
	v_fma_f32 v12, v26, 2.0, -v37
	v_fma_f32 v26, v40, 2.0, -v21
	v_fmac_f32_e32 v39, 0xbf3504f3, v37
	v_mov_b32_e32 v41, v21
	v_fmac_f32_e32 v45, 0x3f3504f3, v24
	v_fmac_f32_e32 v47, 0x3f3504f3, v37
	v_fma_f32 v34, v34, 2.0, -v22
	v_sub_f32_e32 v51, v42, v6
	v_fma_f32 v33, v33, 2.0, -v17
	v_fma_f32 v6, v11, 2.0, -v13
	v_fma_f32 v13, v28, 2.0, -v38
	v_mov_b32_e32 v28, v26
	v_fma_f32 v37, v19, 2.0, -v44
	v_fmac_f32_e32 v41, 0x3f3504f3, v38
	v_fmac_f32_e32 v45, 0x3f3504f3, v38
	v_sub_f32_e32 v48, v34, v7
	v_sub_f32_e32 v53, v33, v6
	v_fmac_f32_e32 v28, 0xbf3504f3, v13
	v_fma_f32 v14, v14, 2.0, -v24
	v_mov_b32_e32 v38, v37
	v_fma_f32 v7, v60, 2.0, -v18
	v_fma_f32 v54, v15, 2.0, -v23
	;; [unrolled: 1-line block ×3, first 2 shown]
	v_fmac_f32_e32 v28, 0xbf3504f3, v14
	v_fmac_f32_e32 v38, 0xbf3504f3, v14
	v_fma_f32 v34, v34, 2.0, -v48
	v_fma_f32 v14, v33, 2.0, -v53
	v_sub_f32_e32 v18, v16, v7
	v_sub_f32_e32 v27, v54, v6
	v_sub_f32_e32 v33, v34, v14
	v_fma_f32 v42, v42, 2.0, -v51
	v_fma_f32 v14, v36, 2.0, -v29
	v_fmac_f32_e32 v41, 0xbf3504f3, v24
	v_sub_f32_e32 v49, v48, v18
	v_add_f32_e32 v55, v53, v27
	v_sub_f32_e32 v36, v42, v14
	v_fma_f32 v53, v54, 2.0, -v27
	v_fma_f32 v14, v16, 2.0, -v18
	v_fma_f32 v18, v32, 2.0, -v39
	v_sub_f32_e32 v54, v53, v14
	v_fma_f32 v14, v20, 2.0, -v50
	v_fma_f32 v20, v21, 2.0, -v41
	v_mov_b32_e32 v19, v18
	v_fmac_f32_e32 v47, 0x3f3504f3, v30
	v_fma_f32 v56, v22, 2.0, -v32
	v_fmac_f32_e32 v19, 0xbec3ef15, v20
	v_fma_f32 v22, v44, 2.0, -v45
	v_fma_f32 v31, v31, 2.0, -v40
	;; [unrolled: 1-line block ×3, first 2 shown]
	v_fmac_f32_e32 v19, 0xbf6c835e, v22
	v_fma_f32 v23, v46, 2.0, -v47
	v_fma_f32 v7, v25, 2.0, -v43
	;; [unrolled: 1-line block ×3, first 2 shown]
	v_mov_b32_e32 v18, v23
	v_sub_f32_e32 v25, v31, v7
	v_fmac_f32_e32 v18, 0xbec3ef15, v22
	v_sub_f32_e32 v43, v25, v29
	v_fma_f32 v10, v17, 2.0, -v30
	v_mov_b32_e32 v30, v56
	v_fmac_f32_e32 v18, 0x3f6c835e, v20
	v_fma_f32 v22, v48, 2.0, -v49
	v_add_f32_e32 v52, v50, v51
	v_fmac_f32_e32 v30, 0xbf3504f3, v10
	v_mov_b32_e32 v57, v40
	v_fma_f32 v20, v23, 2.0, -v18
	v_fma_f32 v24, v25, 2.0, -v43
	v_mov_b32_e32 v23, v22
	v_fmac_f32_e32 v30, 0xbf3504f3, v12
	v_fmac_f32_e32 v57, 0xbf3504f3, v12
	;; [unrolled: 1-line block ×3, first 2 shown]
	v_fma_f32 v29, v51, 2.0, -v52
	v_mov_b32_e32 v11, v30
	v_fmac_f32_e32 v57, 0x3f3504f3, v10
	v_fmac_f32_e32 v23, 0xbf3504f3, v29
	v_fma_f32 v27, v27, 2.0, -v55
	v_fmac_f32_e32 v11, 0x3ec3ef15, v28
	v_fmac_f32_e32 v38, 0x3f3504f3, v13
	v_mov_b32_e32 v10, v57
	v_fma_f32 v31, v31, 2.0, -v25
	v_fma_f32 v25, v22, 2.0, -v23
	v_mov_b32_e32 v22, v27
	v_fmac_f32_e32 v11, 0xbf6c835e, v38
	v_fmac_f32_e32 v10, 0x3ec3ef15, v38
	;; [unrolled: 1-line block ×3, first 2 shown]
	v_fma_f32 v32, v40, 2.0, -v57
	v_fma_f32 v13, v30, 2.0, -v11
	v_fmac_f32_e32 v10, 0x3f6c835e, v28
	v_fmac_f32_e32 v22, 0x3f3504f3, v24
	v_fma_f32 v29, v56, 2.0, -v30
	v_fma_f32 v28, v26, 2.0, -v28
	;; [unrolled: 1-line block ×3, first 2 shown]
	v_mov_b32_e32 v26, v32
	v_fma_f32 v24, v27, 2.0, -v22
	v_mov_b32_e32 v27, v29
	v_fmac_f32_e32 v26, 0xbf6c835e, v30
	v_sub_f32_e32 v15, v33, v36
	v_sub_f32_e32 v50, v31, v14
	v_fmac_f32_e32 v27, 0xbf6c835e, v28
	v_fmac_f32_e32 v26, 0x3ec3ef15, v28
	v_fma_f32 v17, v33, 2.0, -v15
	v_fmac_f32_e32 v27, 0xbec3ef15, v30
	v_fma_f32 v28, v32, 2.0, -v26
	v_fma_f32 v32, v34, 2.0, -v33
	;; [unrolled: 1-line block ×3, first 2 shown]
	v_mad_u64_u32 v[30:31], s[0:1], s2, v35, 0
	v_mov_b32_e32 v3, v39
	v_fmac_f32_e32 v3, 0x3f6c835e, v41
	v_fmac_f32_e32 v3, 0xbec3ef15, v45
	v_sub_f32_e32 v33, v32, v33
	v_add_u32_e32 v40, 48, v35
	v_fma_f32 v5, v39, 2.0, -v3
	v_fma_f32 v37, v32, 2.0, -v33
	v_mad_u64_u32 v[31:32], s[0:1], s3, v35, v[31:32]
	v_mad_u64_u32 v[38:39], s[0:1], s2, v40, 0
	v_mov_b32_e32 v2, v47
	v_fma_f32 v34, v53, 2.0, -v54
	v_fma_f32 v32, v42, 2.0, -v36
	v_fmac_f32_e32 v2, 0x3f6c835e, v45
	v_sub_f32_e32 v32, v34, v32
	v_fmac_f32_e32 v2, 0x3ec3ef15, v41
	v_fma_f32 v36, v34, 2.0, -v32
	v_mov_b32_e32 v34, s13
	v_add_co_u32_e32 v41, vcc, s12, v0
	v_addc_co_u32_e32 v34, vcc, v34, v1, vcc
	v_lshlrev_b64 v[0:1], 3, v[30:31]
	v_mov_b32_e32 v30, v39
	v_mad_u64_u32 v[30:31], s[0:1], s3, v40, v[30:31]
	v_add_co_u32_e32 v0, vcc, v41, v0
	v_addc_co_u32_e32 v1, vcc, v34, v1, vcc
	global_store_dwordx2 v[0:1], v[36:37], off
	v_add_u32_e32 v36, 0x60, v35
	v_mov_b32_e32 v39, v30
	v_mad_u64_u32 v[30:31], s[0:1], s2, v36, 0
	v_lshlrev_b64 v[0:1], 3, v[38:39]
	v_add_u32_e32 v39, 0x90, v35
	v_mad_u64_u32 v[36:37], s[0:1], s3, v36, v[31:32]
	v_mad_u64_u32 v[37:38], s[0:1], s2, v39, 0
	v_add_co_u32_e32 v0, vcc, v41, v0
	v_fma_f32 v29, v29, 2.0, -v27
	v_addc_co_u32_e32 v1, vcc, v34, v1, vcc
	global_store_dwordx2 v[0:1], v[28:29], off
	v_mov_b32_e32 v28, v38
	v_mov_b32_e32 v31, v36
	v_mad_u64_u32 v[28:29], s[0:1], s3, v39, v[28:29]
	v_lshlrev_b64 v[0:1], 3, v[30:31]
	v_add_u32_e32 v31, 0xf0, v35
	v_add_co_u32_e32 v0, vcc, v41, v0
	v_addc_co_u32_e32 v1, vcc, v34, v1, vcc
	v_mov_b32_e32 v38, v28
	v_or_b32_e32 v28, 0xc0, v35
	global_store_dwordx2 v[0:1], v[24:25], off
	v_mad_u64_u32 v[24:25], s[0:1], s2, v28, 0
	v_lshlrev_b64 v[0:1], 3, v[37:38]
	v_add_f32_e32 v14, v54, v50
	v_mad_u64_u32 v[28:29], s[0:1], s3, v28, v[25:26]
	v_mad_u64_u32 v[29:30], s[0:1], s2, v31, 0
	v_add_co_u32_e32 v0, vcc, v41, v0
	v_addc_co_u32_e32 v1, vcc, v34, v1, vcc
	global_store_dwordx2 v[0:1], v[20:21], off
	v_mov_b32_e32 v20, v30
	v_mov_b32_e32 v25, v28
	v_mad_u64_u32 v[20:21], s[0:1], s3, v31, v[20:21]
	v_lshlrev_b64 v[0:1], 3, v[24:25]
	v_fma_f32 v16, v54, 2.0, -v14
	v_add_co_u32_e32 v0, vcc, v41, v0
	v_addc_co_u32_e32 v1, vcc, v34, v1, vcc
	v_mov_b32_e32 v30, v20
	v_add_u32_e32 v20, 0x120, v35
	global_store_dwordx2 v[0:1], v[16:17], off
	v_mad_u64_u32 v[16:17], s[0:1], s2, v20, 0
	v_lshlrev_b64 v[0:1], 3, v[29:30]
	v_fma_f32 v12, v57, 2.0, -v10
	v_mad_u64_u32 v[20:21], s[0:1], s3, v20, v[17:18]
	v_add_u32_e32 v21, 0x150, v35
	v_mad_u64_u32 v[24:25], s[0:1], s2, v21, 0
	v_add_co_u32_e32 v0, vcc, v41, v0
	v_addc_co_u32_e32 v1, vcc, v34, v1, vcc
	global_store_dwordx2 v[0:1], v[12:13], off
	v_mov_b32_e32 v12, v25
	v_mov_b32_e32 v17, v20
	v_mad_u64_u32 v[12:13], s[0:1], s3, v21, v[12:13]
	v_mov_b32_e32 v7, v49
	v_mov_b32_e32 v6, v55
	v_lshlrev_b64 v[0:1], 3, v[16:17]
	v_fmac_f32_e32 v7, 0x3f3504f3, v43
	v_fmac_f32_e32 v6, 0x3f3504f3, v52
	;; [unrolled: 1-line block ×4, first 2 shown]
	v_add_co_u32_e32 v0, vcc, v41, v0
	v_fma_f32 v9, v49, 2.0, -v7
	v_fma_f32 v8, v55, 2.0, -v6
	v_addc_co_u32_e32 v1, vcc, v34, v1, vcc
	v_mov_b32_e32 v25, v12
	v_or_b32_e32 v12, 0x180, v35
	global_store_dwordx2 v[0:1], v[8:9], off
	v_mad_u64_u32 v[8:9], s[0:1], s2, v12, 0
	v_lshlrev_b64 v[0:1], 3, v[24:25]
	v_fma_f32 v4, v47, 2.0, -v2
	v_mad_u64_u32 v[12:13], s[0:1], s3, v12, v[9:10]
	v_add_u32_e32 v13, 0x1b0, v35
	v_mad_u64_u32 v[16:17], s[0:1], s2, v13, 0
	v_add_co_u32_e32 v0, vcc, v41, v0
	v_addc_co_u32_e32 v1, vcc, v34, v1, vcc
	global_store_dwordx2 v[0:1], v[4:5], off
	v_mov_b32_e32 v4, v17
	v_mad_u64_u32 v[4:5], s[0:1], s3, v13, v[4:5]
	v_mov_b32_e32 v9, v12
	v_lshlrev_b64 v[0:1], 3, v[8:9]
	v_add_u32_e32 v8, 0x1e0, v35
	v_mov_b32_e32 v17, v4
	v_mad_u64_u32 v[4:5], s[0:1], s2, v8, 0
	v_add_co_u32_e32 v0, vcc, v41, v0
	v_mad_u64_u32 v[8:9], s[0:1], s3, v8, v[5:6]
	v_addc_co_u32_e32 v1, vcc, v34, v1, vcc
	v_add_u32_e32 v9, 0x210, v35
	global_store_dwordx2 v[0:1], v[32:33], off
	v_lshlrev_b64 v[0:1], 3, v[16:17]
	v_mad_u64_u32 v[12:13], s[0:1], s2, v9, 0
	v_add_co_u32_e32 v0, vcc, v41, v0
	v_addc_co_u32_e32 v1, vcc, v34, v1, vcc
	v_mov_b32_e32 v5, v8
	global_store_dwordx2 v[0:1], v[26:27], off
	v_lshlrev_b64 v[0:1], 3, v[4:5]
	v_mov_b32_e32 v4, v13
	v_mad_u64_u32 v[4:5], s[0:1], s3, v9, v[4:5]
	v_or_b32_e32 v8, 0x240, v35
	v_add_co_u32_e32 v0, vcc, v41, v0
	v_mov_b32_e32 v13, v4
	v_mad_u64_u32 v[4:5], s[0:1], s2, v8, 0
	v_addc_co_u32_e32 v1, vcc, v34, v1, vcc
	v_mad_u64_u32 v[8:9], s[0:1], s3, v8, v[5:6]
	v_add_u32_e32 v9, 0x270, v35
	global_store_dwordx2 v[0:1], v[22:23], off
	v_lshlrev_b64 v[0:1], 3, v[12:13]
	v_mad_u64_u32 v[12:13], s[0:1], s2, v9, 0
	v_add_co_u32_e32 v0, vcc, v41, v0
	v_addc_co_u32_e32 v1, vcc, v34, v1, vcc
	v_mov_b32_e32 v5, v8
	global_store_dwordx2 v[0:1], v[18:19], off
	v_lshlrev_b64 v[0:1], 3, v[4:5]
	v_mov_b32_e32 v4, v13
	v_mad_u64_u32 v[4:5], s[0:1], s3, v9, v[4:5]
	v_add_u32_e32 v8, 0x2a0, v35
	v_add_co_u32_e32 v0, vcc, v41, v0
	v_mov_b32_e32 v13, v4
	v_mad_u64_u32 v[4:5], s[0:1], s2, v8, 0
	v_addc_co_u32_e32 v1, vcc, v34, v1, vcc
	v_mad_u64_u32 v[8:9], s[0:1], s3, v8, v[5:6]
	v_add_u32_e32 v9, 0x2d0, v35
	global_store_dwordx2 v[0:1], v[14:15], off
	v_lshlrev_b64 v[0:1], 3, v[12:13]
	v_mad_u64_u32 v[12:13], s[0:1], s2, v9, 0
	v_add_co_u32_e32 v0, vcc, v41, v0
	v_addc_co_u32_e32 v1, vcc, v34, v1, vcc
	v_mov_b32_e32 v5, v8
	global_store_dwordx2 v[0:1], v[10:11], off
	v_lshlrev_b64 v[0:1], 3, v[4:5]
	v_mov_b32_e32 v4, v13
	v_mad_u64_u32 v[4:5], s[0:1], s3, v9, v[4:5]
	v_add_co_u32_e32 v0, vcc, v41, v0
	v_addc_co_u32_e32 v1, vcc, v34, v1, vcc
	v_mov_b32_e32 v13, v4
	global_store_dwordx2 v[0:1], v[6:7], off
	v_lshlrev_b64 v[0:1], 3, v[12:13]
	v_add_co_u32_e32 v0, vcc, v41, v0
	v_addc_co_u32_e32 v1, vcc, v34, v1, vcc
	global_store_dwordx2 v[0:1], v[2:3], off
.LBB0_23:
	s_endpgm
	.section	.rodata,"a",@progbits
	.p2align	6, 0x0
	.amdhsa_kernel fft_rtc_back_len768_factors_16_3_16_wgs_48_tpt_48_halfLds_sp_ip_CI_sbrr_dirReg
		.amdhsa_group_segment_fixed_size 0
		.amdhsa_private_segment_fixed_size 0
		.amdhsa_kernarg_size 88
		.amdhsa_user_sgpr_count 6
		.amdhsa_user_sgpr_private_segment_buffer 1
		.amdhsa_user_sgpr_dispatch_ptr 0
		.amdhsa_user_sgpr_queue_ptr 0
		.amdhsa_user_sgpr_kernarg_segment_ptr 1
		.amdhsa_user_sgpr_dispatch_id 0
		.amdhsa_user_sgpr_flat_scratch_init 0
		.amdhsa_user_sgpr_private_segment_size 0
		.amdhsa_uses_dynamic_stack 0
		.amdhsa_system_sgpr_private_segment_wavefront_offset 0
		.amdhsa_system_sgpr_workgroup_id_x 1
		.amdhsa_system_sgpr_workgroup_id_y 0
		.amdhsa_system_sgpr_workgroup_id_z 0
		.amdhsa_system_sgpr_workgroup_info 0
		.amdhsa_system_vgpr_workitem_id 0
		.amdhsa_next_free_vgpr 66
		.amdhsa_next_free_sgpr 24
		.amdhsa_reserve_vcc 1
		.amdhsa_reserve_flat_scratch 0
		.amdhsa_float_round_mode_32 0
		.amdhsa_float_round_mode_16_64 0
		.amdhsa_float_denorm_mode_32 3
		.amdhsa_float_denorm_mode_16_64 3
		.amdhsa_dx10_clamp 1
		.amdhsa_ieee_mode 1
		.amdhsa_fp16_overflow 0
		.amdhsa_exception_fp_ieee_invalid_op 0
		.amdhsa_exception_fp_denorm_src 0
		.amdhsa_exception_fp_ieee_div_zero 0
		.amdhsa_exception_fp_ieee_overflow 0
		.amdhsa_exception_fp_ieee_underflow 0
		.amdhsa_exception_fp_ieee_inexact 0
		.amdhsa_exception_int_div_zero 0
	.end_amdhsa_kernel
	.text
.Lfunc_end0:
	.size	fft_rtc_back_len768_factors_16_3_16_wgs_48_tpt_48_halfLds_sp_ip_CI_sbrr_dirReg, .Lfunc_end0-fft_rtc_back_len768_factors_16_3_16_wgs_48_tpt_48_halfLds_sp_ip_CI_sbrr_dirReg
                                        ; -- End function
	.section	.AMDGPU.csdata,"",@progbits
; Kernel info:
; codeLenInByte = 7588
; NumSgprs: 28
; NumVgprs: 66
; ScratchSize: 0
; MemoryBound: 0
; FloatMode: 240
; IeeeMode: 1
; LDSByteSize: 0 bytes/workgroup (compile time only)
; SGPRBlocks: 3
; VGPRBlocks: 16
; NumSGPRsForWavesPerEU: 28
; NumVGPRsForWavesPerEU: 66
; Occupancy: 3
; WaveLimiterHint : 1
; COMPUTE_PGM_RSRC2:SCRATCH_EN: 0
; COMPUTE_PGM_RSRC2:USER_SGPR: 6
; COMPUTE_PGM_RSRC2:TRAP_HANDLER: 0
; COMPUTE_PGM_RSRC2:TGID_X_EN: 1
; COMPUTE_PGM_RSRC2:TGID_Y_EN: 0
; COMPUTE_PGM_RSRC2:TGID_Z_EN: 0
; COMPUTE_PGM_RSRC2:TIDIG_COMP_CNT: 0
	.type	__hip_cuid_2301e7d47a005c56,@object ; @__hip_cuid_2301e7d47a005c56
	.section	.bss,"aw",@nobits
	.globl	__hip_cuid_2301e7d47a005c56
__hip_cuid_2301e7d47a005c56:
	.byte	0                               ; 0x0
	.size	__hip_cuid_2301e7d47a005c56, 1

	.ident	"AMD clang version 19.0.0git (https://github.com/RadeonOpenCompute/llvm-project roc-6.4.0 25133 c7fe45cf4b819c5991fe208aaa96edf142730f1d)"
	.section	".note.GNU-stack","",@progbits
	.addrsig
	.addrsig_sym __hip_cuid_2301e7d47a005c56
	.amdgpu_metadata
---
amdhsa.kernels:
  - .args:
      - .actual_access:  read_only
        .address_space:  global
        .offset:         0
        .size:           8
        .value_kind:     global_buffer
      - .offset:         8
        .size:           8
        .value_kind:     by_value
      - .actual_access:  read_only
        .address_space:  global
        .offset:         16
        .size:           8
        .value_kind:     global_buffer
      - .actual_access:  read_only
        .address_space:  global
        .offset:         24
        .size:           8
        .value_kind:     global_buffer
      - .offset:         32
        .size:           8
        .value_kind:     by_value
      - .actual_access:  read_only
        .address_space:  global
        .offset:         40
        .size:           8
        .value_kind:     global_buffer
      - .actual_access:  read_only
        .address_space:  global
        .offset:         48
        .size:           8
        .value_kind:     global_buffer
      - .offset:         56
        .size:           4
        .value_kind:     by_value
      - .actual_access:  read_only
        .address_space:  global
        .offset:         64
        .size:           8
        .value_kind:     global_buffer
      - .actual_access:  read_only
        .address_space:  global
        .offset:         72
        .size:           8
        .value_kind:     global_buffer
      - .address_space:  global
        .offset:         80
        .size:           8
        .value_kind:     global_buffer
    .group_segment_fixed_size: 0
    .kernarg_segment_align: 8
    .kernarg_segment_size: 88
    .language:       OpenCL C
    .language_version:
      - 2
      - 0
    .max_flat_workgroup_size: 48
    .name:           fft_rtc_back_len768_factors_16_3_16_wgs_48_tpt_48_halfLds_sp_ip_CI_sbrr_dirReg
    .private_segment_fixed_size: 0
    .sgpr_count:     28
    .sgpr_spill_count: 0
    .symbol:         fft_rtc_back_len768_factors_16_3_16_wgs_48_tpt_48_halfLds_sp_ip_CI_sbrr_dirReg.kd
    .uniform_work_group_size: 1
    .uses_dynamic_stack: false
    .vgpr_count:     66
    .vgpr_spill_count: 0
    .wavefront_size: 64
amdhsa.target:   amdgcn-amd-amdhsa--gfx906
amdhsa.version:
  - 1
  - 2
...

	.end_amdgpu_metadata
